;; amdgpu-corpus repo=ROCm/rocFFT kind=compiled arch=gfx1201 opt=O3
	.text
	.amdgcn_target "amdgcn-amd-amdhsa--gfx1201"
	.amdhsa_code_object_version 6
	.protected	fft_rtc_back_len144_factors_6_6_4_wgs_120_tpt_12_halfLds_dp_ip_CI_unitstride_sbrr_R2C_dirReg ; -- Begin function fft_rtc_back_len144_factors_6_6_4_wgs_120_tpt_12_halfLds_dp_ip_CI_unitstride_sbrr_R2C_dirReg
	.globl	fft_rtc_back_len144_factors_6_6_4_wgs_120_tpt_12_halfLds_dp_ip_CI_unitstride_sbrr_R2C_dirReg
	.p2align	8
	.type	fft_rtc_back_len144_factors_6_6_4_wgs_120_tpt_12_halfLds_dp_ip_CI_unitstride_sbrr_R2C_dirReg,@function
fft_rtc_back_len144_factors_6_6_4_wgs_120_tpt_12_halfLds_dp_ip_CI_unitstride_sbrr_R2C_dirReg: ; @fft_rtc_back_len144_factors_6_6_4_wgs_120_tpt_12_halfLds_dp_ip_CI_unitstride_sbrr_R2C_dirReg
; %bb.0:
	s_load_b128 s[4:7], s[0:1], 0x0
	v_mul_u32_u24_e32 v1, 0x1556, v0
	s_clause 0x1
	s_load_b64 s[8:9], s[0:1], 0x50
	s_load_b64 s[10:11], s[0:1], 0x18
	v_mov_b32_e32 v5, 0
	v_lshrrev_b32_e32 v1, 16, v1
	s_delay_alu instid0(VALU_DEP_1) | instskip(SKIP_3) | instid1(VALU_DEP_1)
	v_mad_co_u64_u32 v[1:2], null, ttmp9, 10, v[1:2]
	v_mov_b32_e32 v3, 0
	v_mov_b32_e32 v4, 0
	;; [unrolled: 1-line block ×4, first 2 shown]
	s_wait_kmcnt 0x0
	v_cmp_lt_u64_e64 s2, s[6:7], 2
	v_mov_b32_e32 v9, v1
	s_delay_alu instid0(VALU_DEP_2)
	s_and_b32 vcc_lo, exec_lo, s2
	s_cbranch_vccnz .LBB0_8
; %bb.1:
	s_load_b64 s[2:3], s[0:1], 0x10
	v_dual_mov_b32 v3, 0 :: v_dual_mov_b32 v8, v2
	v_dual_mov_b32 v4, 0 :: v_dual_mov_b32 v7, v1
	s_add_nc_u64 s[12:13], s[10:11], 8
	s_mov_b64 s[14:15], 1
	s_wait_kmcnt 0x0
	s_add_nc_u64 s[16:17], s[2:3], 8
	s_mov_b32 s3, 0
.LBB0_2:                                ; =>This Inner Loop Header: Depth=1
	s_load_b64 s[18:19], s[16:17], 0x0
                                        ; implicit-def: $vgpr9_vgpr10
	s_mov_b32 s2, exec_lo
	s_wait_kmcnt 0x0
	v_or_b32_e32 v6, s19, v8
	s_delay_alu instid0(VALU_DEP_1)
	v_cmpx_ne_u64_e32 0, v[5:6]
	s_wait_alu 0xfffe
	s_xor_b32 s20, exec_lo, s2
	s_cbranch_execz .LBB0_4
; %bb.3:                                ;   in Loop: Header=BB0_2 Depth=1
	s_cvt_f32_u32 s2, s18
	s_cvt_f32_u32 s21, s19
	s_sub_nc_u64 s[24:25], 0, s[18:19]
	s_wait_alu 0xfffe
	s_delay_alu instid0(SALU_CYCLE_1) | instskip(SKIP_1) | instid1(SALU_CYCLE_2)
	s_fmamk_f32 s2, s21, 0x4f800000, s2
	s_wait_alu 0xfffe
	v_s_rcp_f32 s2, s2
	s_delay_alu instid0(TRANS32_DEP_1) | instskip(SKIP_1) | instid1(SALU_CYCLE_2)
	s_mul_f32 s2, s2, 0x5f7ffffc
	s_wait_alu 0xfffe
	s_mul_f32 s21, s2, 0x2f800000
	s_wait_alu 0xfffe
	s_delay_alu instid0(SALU_CYCLE_2) | instskip(SKIP_1) | instid1(SALU_CYCLE_2)
	s_trunc_f32 s21, s21
	s_wait_alu 0xfffe
	s_fmamk_f32 s2, s21, 0xcf800000, s2
	s_cvt_u32_f32 s23, s21
	s_wait_alu 0xfffe
	s_delay_alu instid0(SALU_CYCLE_1) | instskip(SKIP_1) | instid1(SALU_CYCLE_2)
	s_cvt_u32_f32 s22, s2
	s_wait_alu 0xfffe
	s_mul_u64 s[26:27], s[24:25], s[22:23]
	s_wait_alu 0xfffe
	s_mul_hi_u32 s29, s22, s27
	s_mul_i32 s28, s22, s27
	s_mul_hi_u32 s2, s22, s26
	s_mul_i32 s30, s23, s26
	s_wait_alu 0xfffe
	s_add_nc_u64 s[28:29], s[2:3], s[28:29]
	s_mul_hi_u32 s21, s23, s26
	s_mul_hi_u32 s31, s23, s27
	s_add_co_u32 s2, s28, s30
	s_wait_alu 0xfffe
	s_add_co_ci_u32 s2, s29, s21
	s_mul_i32 s26, s23, s27
	s_add_co_ci_u32 s27, s31, 0
	s_wait_alu 0xfffe
	s_add_nc_u64 s[26:27], s[2:3], s[26:27]
	s_wait_alu 0xfffe
	v_add_co_u32 v2, s2, s22, s26
	s_delay_alu instid0(VALU_DEP_1) | instskip(SKIP_1) | instid1(VALU_DEP_1)
	s_cmp_lg_u32 s2, 0
	s_add_co_ci_u32 s23, s23, s27
	v_readfirstlane_b32 s22, v2
	s_wait_alu 0xfffe
	s_delay_alu instid0(VALU_DEP_1)
	s_mul_u64 s[24:25], s[24:25], s[22:23]
	s_wait_alu 0xfffe
	s_mul_hi_u32 s27, s22, s25
	s_mul_i32 s26, s22, s25
	s_mul_hi_u32 s2, s22, s24
	s_mul_i32 s28, s23, s24
	s_wait_alu 0xfffe
	s_add_nc_u64 s[26:27], s[2:3], s[26:27]
	s_mul_hi_u32 s21, s23, s24
	s_mul_hi_u32 s22, s23, s25
	s_wait_alu 0xfffe
	s_add_co_u32 s2, s26, s28
	s_add_co_ci_u32 s2, s27, s21
	s_mul_i32 s24, s23, s25
	s_add_co_ci_u32 s25, s22, 0
	s_wait_alu 0xfffe
	s_add_nc_u64 s[24:25], s[2:3], s[24:25]
	s_wait_alu 0xfffe
	v_add_co_u32 v2, s2, v2, s24
	s_delay_alu instid0(VALU_DEP_1) | instskip(SKIP_1) | instid1(VALU_DEP_1)
	s_cmp_lg_u32 s2, 0
	s_add_co_ci_u32 s2, s23, s25
	v_mul_hi_u32 v6, v7, v2
	s_wait_alu 0xfffe
	v_mad_co_u64_u32 v[9:10], null, v7, s2, 0
	v_mad_co_u64_u32 v[11:12], null, v8, v2, 0
	;; [unrolled: 1-line block ×3, first 2 shown]
	s_delay_alu instid0(VALU_DEP_3) | instskip(SKIP_1) | instid1(VALU_DEP_4)
	v_add_co_u32 v2, vcc_lo, v6, v9
	s_wait_alu 0xfffd
	v_add_co_ci_u32_e32 v6, vcc_lo, 0, v10, vcc_lo
	s_delay_alu instid0(VALU_DEP_2) | instskip(SKIP_1) | instid1(VALU_DEP_2)
	v_add_co_u32 v2, vcc_lo, v2, v11
	s_wait_alu 0xfffd
	v_add_co_ci_u32_e32 v2, vcc_lo, v6, v12, vcc_lo
	s_wait_alu 0xfffd
	v_add_co_ci_u32_e32 v6, vcc_lo, 0, v14, vcc_lo
	s_delay_alu instid0(VALU_DEP_2) | instskip(SKIP_1) | instid1(VALU_DEP_2)
	v_add_co_u32 v2, vcc_lo, v2, v13
	s_wait_alu 0xfffd
	v_add_co_ci_u32_e32 v6, vcc_lo, 0, v6, vcc_lo
	s_delay_alu instid0(VALU_DEP_2) | instskip(SKIP_1) | instid1(VALU_DEP_3)
	v_mul_lo_u32 v11, s19, v2
	v_mad_co_u64_u32 v[9:10], null, s18, v2, 0
	v_mul_lo_u32 v12, s18, v6
	s_delay_alu instid0(VALU_DEP_2) | instskip(NEXT) | instid1(VALU_DEP_2)
	v_sub_co_u32 v9, vcc_lo, v7, v9
	v_add3_u32 v10, v10, v12, v11
	s_delay_alu instid0(VALU_DEP_1) | instskip(SKIP_1) | instid1(VALU_DEP_1)
	v_sub_nc_u32_e32 v11, v8, v10
	s_wait_alu 0xfffd
	v_subrev_co_ci_u32_e64 v11, s2, s19, v11, vcc_lo
	v_add_co_u32 v12, s2, v2, 2
	s_wait_alu 0xf1ff
	v_add_co_ci_u32_e64 v13, s2, 0, v6, s2
	v_sub_co_u32 v14, s2, v9, s18
	v_sub_co_ci_u32_e32 v10, vcc_lo, v8, v10, vcc_lo
	s_wait_alu 0xf1ff
	v_subrev_co_ci_u32_e64 v11, s2, 0, v11, s2
	s_delay_alu instid0(VALU_DEP_3) | instskip(NEXT) | instid1(VALU_DEP_3)
	v_cmp_le_u32_e32 vcc_lo, s18, v14
	v_cmp_eq_u32_e64 s2, s19, v10
	s_wait_alu 0xfffd
	v_cndmask_b32_e64 v14, 0, -1, vcc_lo
	v_cmp_le_u32_e32 vcc_lo, s19, v11
	s_wait_alu 0xfffd
	v_cndmask_b32_e64 v15, 0, -1, vcc_lo
	v_cmp_le_u32_e32 vcc_lo, s18, v9
	;; [unrolled: 3-line block ×3, first 2 shown]
	s_wait_alu 0xfffd
	v_cndmask_b32_e64 v16, 0, -1, vcc_lo
	v_cmp_eq_u32_e32 vcc_lo, s19, v11
	s_wait_alu 0xf1ff
	s_delay_alu instid0(VALU_DEP_2)
	v_cndmask_b32_e64 v9, v16, v9, s2
	s_wait_alu 0xfffd
	v_cndmask_b32_e32 v11, v15, v14, vcc_lo
	v_add_co_u32 v14, vcc_lo, v2, 1
	s_wait_alu 0xfffd
	v_add_co_ci_u32_e32 v15, vcc_lo, 0, v6, vcc_lo
	s_delay_alu instid0(VALU_DEP_3) | instskip(SKIP_1) | instid1(VALU_DEP_2)
	v_cmp_ne_u32_e32 vcc_lo, 0, v11
	s_wait_alu 0xfffd
	v_dual_cndmask_b32 v10, v15, v13 :: v_dual_cndmask_b32 v11, v14, v12
	v_cmp_ne_u32_e32 vcc_lo, 0, v9
	s_wait_alu 0xfffd
	s_delay_alu instid0(VALU_DEP_2) | instskip(NEXT) | instid1(VALU_DEP_3)
	v_cndmask_b32_e32 v10, v6, v10, vcc_lo
	v_cndmask_b32_e32 v9, v2, v11, vcc_lo
.LBB0_4:                                ;   in Loop: Header=BB0_2 Depth=1
	s_wait_alu 0xfffe
	s_and_not1_saveexec_b32 s2, s20
	s_cbranch_execz .LBB0_6
; %bb.5:                                ;   in Loop: Header=BB0_2 Depth=1
	v_cvt_f32_u32_e32 v2, s18
	s_sub_co_i32 s20, 0, s18
	s_delay_alu instid0(VALU_DEP_1) | instskip(NEXT) | instid1(TRANS32_DEP_1)
	v_rcp_iflag_f32_e32 v2, v2
	v_mul_f32_e32 v2, 0x4f7ffffe, v2
	s_delay_alu instid0(VALU_DEP_1) | instskip(SKIP_1) | instid1(VALU_DEP_1)
	v_cvt_u32_f32_e32 v2, v2
	s_wait_alu 0xfffe
	v_mul_lo_u32 v6, s20, v2
	s_delay_alu instid0(VALU_DEP_1) | instskip(NEXT) | instid1(VALU_DEP_1)
	v_mul_hi_u32 v6, v2, v6
	v_add_nc_u32_e32 v2, v2, v6
	s_delay_alu instid0(VALU_DEP_1) | instskip(NEXT) | instid1(VALU_DEP_1)
	v_mul_hi_u32 v2, v7, v2
	v_mul_lo_u32 v6, v2, s18
	v_add_nc_u32_e32 v9, 1, v2
	s_delay_alu instid0(VALU_DEP_2) | instskip(NEXT) | instid1(VALU_DEP_1)
	v_sub_nc_u32_e32 v6, v7, v6
	v_subrev_nc_u32_e32 v10, s18, v6
	v_cmp_le_u32_e32 vcc_lo, s18, v6
	s_wait_alu 0xfffd
	s_delay_alu instid0(VALU_DEP_2) | instskip(SKIP_2) | instid1(VALU_DEP_3)
	v_cndmask_b32_e32 v6, v6, v10, vcc_lo
	v_mov_b32_e32 v10, v5
	v_cndmask_b32_e32 v2, v2, v9, vcc_lo
	v_cmp_le_u32_e32 vcc_lo, s18, v6
	s_delay_alu instid0(VALU_DEP_2) | instskip(SKIP_1) | instid1(VALU_DEP_1)
	v_add_nc_u32_e32 v9, 1, v2
	s_wait_alu 0xfffd
	v_cndmask_b32_e32 v9, v2, v9, vcc_lo
.LBB0_6:                                ;   in Loop: Header=BB0_2 Depth=1
	s_wait_alu 0xfffe
	s_or_b32 exec_lo, exec_lo, s2
	s_load_b64 s[20:21], s[12:13], 0x0
	v_mul_lo_u32 v2, v10, s18
	v_mul_lo_u32 v6, v9, s19
	v_mad_co_u64_u32 v[11:12], null, v9, s18, 0
	s_add_nc_u64 s[14:15], s[14:15], 1
	s_add_nc_u64 s[12:13], s[12:13], 8
	s_wait_alu 0xfffe
	v_cmp_ge_u64_e64 s2, s[14:15], s[6:7]
	s_add_nc_u64 s[16:17], s[16:17], 8
	s_delay_alu instid0(VALU_DEP_2) | instskip(NEXT) | instid1(VALU_DEP_3)
	v_add3_u32 v2, v12, v6, v2
	v_sub_co_u32 v6, vcc_lo, v7, v11
	s_wait_alu 0xfffd
	s_delay_alu instid0(VALU_DEP_2) | instskip(SKIP_3) | instid1(VALU_DEP_2)
	v_sub_co_ci_u32_e32 v2, vcc_lo, v8, v2, vcc_lo
	s_and_b32 vcc_lo, exec_lo, s2
	s_wait_kmcnt 0x0
	v_mul_lo_u32 v7, s21, v6
	v_mul_lo_u32 v2, s20, v2
	v_mad_co_u64_u32 v[3:4], null, s20, v6, v[3:4]
	s_delay_alu instid0(VALU_DEP_1)
	v_add3_u32 v4, v7, v4, v2
	s_wait_alu 0xfffe
	s_cbranch_vccnz .LBB0_8
; %bb.7:                                ;   in Loop: Header=BB0_2 Depth=1
	v_dual_mov_b32 v7, v9 :: v_dual_mov_b32 v8, v10
	s_branch .LBB0_2
.LBB0_8:
	s_lshl_b64 s[2:3], s[6:7], 3
	v_mul_hi_u32 v2, 0xcccccccd, v1
	s_wait_alu 0xfffe
	s_add_nc_u64 s[2:3], s[10:11], s[2:3]
	v_mul_hi_u32 v5, 0x15555556, v0
	s_load_b64 s[2:3], s[2:3], 0x0
	s_load_b64 s[0:1], s[0:1], 0x20
	s_delay_alu instid0(VALU_DEP_2) | instskip(NEXT) | instid1(VALU_DEP_2)
	v_lshrrev_b32_e32 v2, 3, v2
	v_mul_u32_u24_e32 v5, 12, v5
	s_delay_alu instid0(VALU_DEP_2) | instskip(NEXT) | instid1(VALU_DEP_2)
	v_mul_lo_u32 v6, v2, 10
	v_sub_nc_u32_e32 v8, v0, v5
	s_delay_alu instid0(VALU_DEP_1) | instskip(NEXT) | instid1(VALU_DEP_3)
	v_add_nc_u32_e32 v12, 12, v8
	v_sub_nc_u32_e32 v0, v1, v6
	v_add_nc_u32_e32 v14, 24, v8
	s_wait_kmcnt 0x0
	v_mul_lo_u32 v5, s2, v10
	v_mul_lo_u32 v7, s3, v9
	v_mad_co_u64_u32 v[2:3], null, s2, v9, v[3:4]
	v_cmp_gt_u64_e32 vcc_lo, s[0:1], v[9:10]
	v_cmp_le_u64_e64 s0, s[0:1], v[9:10]
	s_delay_alu instid0(VALU_DEP_3) | instskip(NEXT) | instid1(VALU_DEP_2)
	v_add3_u32 v3, v7, v3, v5
	s_and_saveexec_b32 s1, s0
	s_wait_alu 0xfffe
	s_xor_b32 s0, exec_lo, s1
; %bb.9:
	v_add_nc_u32_e32 v12, 12, v8
	v_add_nc_u32_e32 v14, 24, v8
; %bb.10:
	s_wait_alu 0xfffe
	s_or_saveexec_b32 s1, s0
	v_mul_u32_u24_e32 v0, 0x91, v0
	v_lshlrev_b64_e32 v[10:11], 4, v[2:3]
	s_delay_alu instid0(VALU_DEP_2)
	v_lshlrev_b32_e32 v4, 4, v0
	v_lshlrev_b32_e32 v0, 4, v8
	s_wait_alu 0xfffe
	s_xor_b32 exec_lo, exec_lo, s1
	s_cbranch_execz .LBB0_12
; %bb.11:
	v_mov_b32_e32 v9, 0
	v_add_co_u32 v3, s0, s8, v10
	s_wait_alu 0xf1ff
	v_add_co_ci_u32_e64 v5, s0, s9, v11, s0
	s_delay_alu instid0(VALU_DEP_3) | instskip(NEXT) | instid1(VALU_DEP_1)
	v_lshlrev_b64_e32 v[1:2], 4, v[8:9]
	v_add_co_u32 v1, s0, v3, v1
	s_wait_alu 0xf1ff
	s_delay_alu instid0(VALU_DEP_2)
	v_add_co_ci_u32_e64 v2, s0, v5, v2, s0
	s_clause 0xb
	global_load_b128 v[15:18], v[1:2], off
	global_load_b128 v[19:22], v[1:2], off offset:192
	global_load_b128 v[23:26], v[1:2], off offset:384
	;; [unrolled: 1-line block ×11, first 2 shown]
	v_add3_u32 v1, 0, v4, v0
	s_wait_loadcnt 0xb
	ds_store_b128 v1, v[15:18]
	s_wait_loadcnt 0xa
	ds_store_b128 v1, v[19:22] offset:192
	s_wait_loadcnt 0x9
	ds_store_b128 v1, v[23:26] offset:384
	;; [unrolled: 2-line block ×11, first 2 shown]
.LBB0_12:
	s_or_b32 exec_lo, exec_lo, s1
	v_add3_u32 v3, 0, v0, v4
	global_wb scope:SCOPE_SE
	s_wait_dscnt 0x0
	s_barrier_signal -1
	s_barrier_wait -1
	global_inv scope:SCOPE_SE
	ds_load_b128 v[15:18], v3 offset:1920
	ds_load_b128 v[24:27], v3 offset:1152
	;; [unrolled: 1-line block ×10, first 2 shown]
	s_mov_b32 s6, 0xe8584caa
	s_mov_b32 s7, 0xbfebb67a
	;; [unrolled: 1-line block ×3, first 2 shown]
	s_wait_alu 0xfffe
	s_mov_b32 s2, s6
	v_add_nc_u32_e32 v23, 0, v4
	v_cmp_gt_u32_e64 s0, 6, v8
	v_mad_u32_u24 v7, 0x50, v8, v3
	v_mul_u32_u24_e32 v13, 3, v8
	s_mov_b32 s1, exec_lo
	s_delay_alu instid0(VALU_DEP_1)
	v_lshlrev_b32_e32 v13, 4, v13
	s_wait_dscnt 0x8
	v_add_f64_e32 v[1:2], v[26:27], v[17:18]
	v_add_f64_e32 v[19:20], v[24:25], v[15:16]
	s_wait_dscnt 0x6
	v_add_f64_e32 v[5:6], v[30:31], v[34:35]
	v_add_f64_e64 v[21:22], v[24:25], -v[15:16]
	v_add_f64_e32 v[60:61], v[28:29], v[32:33]
	v_add_f64_e64 v[62:63], v[28:29], -v[32:33]
	s_wait_dscnt 0x2
	v_add_f64_e32 v[68:69], v[48:49], v[44:45]
	v_add_f64_e32 v[70:71], v[50:51], v[46:47]
	v_add_f64_e64 v[72:73], v[26:27], -v[17:18]
	s_wait_dscnt 0x0
	v_add_f64_e32 v[76:77], v[52:53], v[56:57]
	v_add_f64_e32 v[78:79], v[54:55], v[58:59]
	v_add_f64_e64 v[80:81], v[30:31], -v[34:35]
	v_add_f64_e32 v[24:25], v[36:37], v[24:25]
	v_add_f64_e32 v[26:27], v[38:39], v[26:27]
	;; [unrolled: 1-line block ×4, first 2 shown]
	v_add_f64_e64 v[86:87], v[50:51], -v[46:47]
	v_add_f64_e64 v[88:89], v[48:49], -v[44:45]
	v_fma_f64 v[1:2], v[1:2], -0.5, v[38:39]
	v_fma_f64 v[19:20], v[19:20], -0.5, v[36:37]
	;; [unrolled: 1-line block ×3, first 2 shown]
	v_add_f64_e64 v[36:37], v[54:55], -v[58:59]
	v_fma_f64 v[82:83], v[60:61], -0.5, v[40:41]
	v_add_f64_e64 v[38:39], v[52:53], -v[56:57]
	v_add_f64_e32 v[24:25], v[24:25], v[15:16]
	v_add_f64_e32 v[26:27], v[26:27], v[17:18]
	;; [unrolled: 1-line block ×4, first 2 shown]
	s_wait_alu 0xfffe
	v_fma_f64 v[74:75], v[21:22], s[2:3], v[1:2]
	v_fma_f64 v[1:2], v[21:22], s[6:7], v[1:2]
	;; [unrolled: 1-line block ×4, first 2 shown]
	v_add_nc_u32_e32 v22, v23, v0
	ds_load_b128 v[60:63], v22
	ds_load_b128 v[64:67], v3 offset:192
	global_wb scope:SCOPE_SE
	s_wait_dscnt 0x0
	s_barrier_signal -1
	s_barrier_wait -1
	global_inv scope:SCOPE_SE
	v_add_f64_e32 v[40:41], v[60:61], v[48:49]
	v_add_f64_e32 v[42:43], v[62:63], v[50:51]
	;; [unrolled: 1-line block ×4, first 2 shown]
	v_fma_f64 v[52:53], v[68:69], -0.5, v[60:61]
	v_fma_f64 v[54:55], v[70:71], -0.5, v[62:63]
	v_fma_f64 v[60:61], v[72:73], s[6:7], v[19:20]
	v_fma_f64 v[19:20], v[72:73], s[2:3], v[19:20]
	v_fma_f64 v[64:65], v[76:77], -0.5, v[64:65]
	v_fma_f64 v[66:67], v[78:79], -0.5, v[66:67]
	v_mul_f64_e32 v[62:63], s[6:7], v[74:75]
	v_mul_f64_e32 v[70:71], 0.5, v[74:75]
	v_mul_f64_e32 v[68:69], s[6:7], v[1:2]
	v_mul_f64_e32 v[1:2], -0.5, v[1:2]
	v_fma_f64 v[72:73], v[80:81], s[6:7], v[82:83]
	v_fma_f64 v[74:75], v[80:81], s[2:3], v[82:83]
	v_mul_f64_e32 v[76:77], s[6:7], v[84:85]
	v_mul_f64_e32 v[80:81], 0.5, v[84:85]
	v_mul_f64_e32 v[78:79], s[6:7], v[5:6]
	v_mul_f64_e32 v[5:6], -0.5, v[5:6]
	v_add_f64_e32 v[28:29], v[40:41], v[44:45]
	v_add_f64_e32 v[30:31], v[42:43], v[46:47]
	;; [unrolled: 1-line block ×4, first 2 shown]
	v_fma_f64 v[44:45], v[86:87], s[6:7], v[52:53]
	v_fma_f64 v[50:51], v[88:89], s[2:3], v[54:55]
	;; [unrolled: 1-line block ×4, first 2 shown]
	v_fma_f64 v[48:49], v[60:61], 0.5, v[62:63]
	v_fma_f64 v[56:57], v[60:61], s[2:3], v[70:71]
	v_fma_f64 v[54:55], v[19:20], -0.5, v[68:69]
	v_fma_f64 v[1:2], v[19:20], s[2:3], v[1:2]
	v_fma_f64 v[19:20], v[36:37], s[6:7], v[64:65]
	;; [unrolled: 1-line block ×3, first 2 shown]
	v_fma_f64 v[60:61], v[72:73], 0.5, v[76:77]
	v_fma_f64 v[70:71], v[72:73], s[2:3], v[80:81]
	v_fma_f64 v[62:63], v[36:37], s[2:3], v[64:65]
	;; [unrolled: 1-line block ×3, first 2 shown]
	v_fma_f64 v[64:65], v[74:75], -0.5, v[78:79]
	v_fma_f64 v[5:6], v[74:75], s[2:3], v[5:6]
	v_add_f64_e32 v[15:16], v[28:29], v[24:25]
	v_add_f64_e32 v[17:18], v[30:31], v[26:27]
	v_add_f64_e64 v[24:25], v[28:29], -v[24:25]
	v_add_f64_e64 v[26:27], v[30:31], -v[26:27]
	v_add_f64_e32 v[28:29], v[40:41], v[32:33]
	v_add_f64_e32 v[30:31], v[42:43], v[34:35]
	v_add_f64_e64 v[32:33], v[40:41], -v[32:33]
	v_add_f64_e64 v[34:35], v[42:43], -v[34:35]
	v_add_f64_e32 v[36:37], v[44:45], v[48:49]
	v_add_f64_e32 v[38:39], v[50:51], v[56:57]
	v_add_f64_e32 v[40:41], v[46:47], v[54:55]
	v_add_f64_e32 v[42:43], v[52:53], v[1:2]
	v_add_f64_e64 v[44:45], v[44:45], -v[48:49]
	v_add_f64_e64 v[48:49], v[46:47], -v[54:55]
	;; [unrolled: 1-line block ×4, first 2 shown]
	v_mov_b32_e32 v2, 0
	v_add_f64_e32 v[52:53], v[19:20], v[60:61]
	v_add_f64_e32 v[54:55], v[68:69], v[70:71]
	;; [unrolled: 1-line block ×4, first 2 shown]
	v_add_f64_e64 v[60:61], v[19:20], -v[60:61]
	v_add_f64_e64 v[64:65], v[62:63], -v[64:65]
	;; [unrolled: 1-line block ×3, first 2 shown]
	v_add_nc_u32_e32 v1, -6, v8
	v_add_f64_e64 v[66:67], v[66:67], -v[5:6]
	v_mul_i32_i24_e32 v5, 6, v12
	s_wait_alu 0xf1ff
	s_delay_alu instid0(VALU_DEP_3) | instskip(NEXT) | instid1(VALU_DEP_2)
	v_cndmask_b32_e64 v6, v1, v8, s0
	v_lshl_add_u32 v5, v5, 4, v23
	ds_store_b128 v7, v[15:18]
	ds_store_b128 v7, v[36:39] offset:16
	ds_store_b128 v7, v[40:43] offset:32
	;; [unrolled: 1-line block ×5, first 2 shown]
	ds_store_b128 v5, v[28:31]
	ds_store_b128 v5, v[52:55] offset:16
	ds_store_b128 v5, v[56:59] offset:32
	;; [unrolled: 1-line block ×5, first 2 shown]
	v_mul_i32_i24_e32 v1, 5, v6
	global_wb scope:SCOPE_SE
	s_wait_dscnt 0x0
	s_barrier_signal -1
	s_barrier_wait -1
	global_inv scope:SCOPE_SE
	v_lshlrev_b64_e32 v[19:20], 4, v[1:2]
	v_and_b32_e32 v1, 0xff, v12
	v_lshl_add_u32 v24, v14, 4, v23
	v_mad_i32_i24 v5, 0xffffffb0, v12, v5
	v_lshlrev_b32_e32 v6, 4, v6
	v_add_co_u32 v19, s0, s4, v19
	s_wait_alu 0xf1ff
	v_add_co_ci_u32_e64 v20, s0, s5, v20, s0
	s_clause 0x4
	global_load_b128 v[15:18], v[19:20], off
	global_load_b128 v[25:28], v[19:20], off offset:16
	global_load_b128 v[29:32], v[19:20], off offset:32
	;; [unrolled: 1-line block ×4, first 2 shown]
	v_mul_lo_u16 v1, 0xab, v1
	v_cmp_lt_u32_e64 s0, 5, v8
	s_delay_alu instid0(VALU_DEP_2) | instskip(NEXT) | instid1(VALU_DEP_1)
	v_lshrrev_b16 v7, 10, v1
	v_mul_lo_u16 v1, v7, 6
	v_and_b32_e32 v7, 0xffff, v7
	s_delay_alu instid0(VALU_DEP_2) | instskip(NEXT) | instid1(VALU_DEP_2)
	v_sub_nc_u16 v1, v12, v1
	v_mad_u32_u24 v7, 0x240, v7, 0
	s_delay_alu instid0(VALU_DEP_2) | instskip(NEXT) | instid1(VALU_DEP_1)
	v_and_b32_e32 v1, 0xff, v1
	v_mul_u32_u24_e32 v9, 5, v1
	v_lshlrev_b32_e32 v1, 4, v1
	s_delay_alu instid0(VALU_DEP_2)
	v_lshlrev_b32_e32 v9, 4, v9
	s_clause 0x4
	global_load_b128 v[41:44], v9, s[4:5] offset:32
	global_load_b128 v[45:48], v9, s[4:5] offset:64
	global_load_b128 v[49:52], v9, s[4:5]
	global_load_b128 v[53:56], v9, s[4:5] offset:16
	global_load_b128 v[57:60], v9, s[4:5] offset:48
	ds_load_b128 v[61:64], v24
	ds_load_b128 v[65:68], v5
	s_wait_alu 0xf1ff
	v_cndmask_b32_e64 v9, 0, 0x240, s0
	v_add3_u32 v1, v7, v1, v4
	s_delay_alu instid0(VALU_DEP_2) | instskip(NEXT) | instid1(VALU_DEP_1)
	v_add_nc_u32_e32 v9, 0, v9
	v_add3_u32 v6, v9, v6, v4
	s_wait_loadcnt_dscnt 0x901
	v_mul_f64_e32 v[81:82], v[63:64], v[17:18]
	v_mul_f64_e32 v[83:84], v[61:62], v[17:18]
	ds_load_b128 v[17:20], v3 offset:768
	ds_load_b128 v[69:72], v3 offset:1152
	;; [unrolled: 1-line block ×4, first 2 shown]
	s_wait_loadcnt_dscnt 0x803
	v_mul_f64_e32 v[85:86], v[19:20], v[27:28]
	v_mul_f64_e32 v[27:28], v[17:18], v[27:28]
	s_wait_loadcnt_dscnt 0x702
	v_mul_f64_e32 v[87:88], v[71:72], v[31:32]
	v_mul_f64_e32 v[31:32], v[69:70], v[31:32]
	v_fma_f64 v[81:82], v[61:62], v[15:16], v[81:82]
	v_fma_f64 v[83:84], v[63:64], v[15:16], -v[83:84]
	ds_load_b128 v[61:64], v3 offset:1536
	v_fma_f64 v[85:86], v[17:18], v[25:26], v[85:86]
	v_fma_f64 v[19:20], v[19:20], v[25:26], -v[27:28]
	s_wait_loadcnt_dscnt 0x600
	v_mul_f64_e32 v[89:90], v[63:64], v[35:36]
	v_mul_f64_e32 v[35:36], v[61:62], v[35:36]
	ds_load_b128 v[15:18], v3 offset:1728
	v_fma_f64 v[69:70], v[69:70], v[29:30], v[87:88]
	v_fma_f64 v[71:72], v[71:72], v[29:30], -v[31:32]
	ds_load_b128 v[25:28], v3 offset:1920
	ds_load_b128 v[29:32], v3 offset:2112
	s_wait_loadcnt_dscnt 0x501
	v_mul_f64_e32 v[87:88], v[27:28], v[39:40]
	v_fma_f64 v[61:62], v[61:62], v[33:34], v[89:90]
	v_fma_f64 v[33:34], v[63:64], v[33:34], -v[35:36]
	v_mul_f64_e32 v[35:36], v[25:26], v[39:40]
	s_wait_loadcnt 0x4
	v_mul_f64_e32 v[39:40], v[77:78], v[43:44]
	s_wait_loadcnt_dscnt 0x300
	v_mul_f64_e32 v[63:64], v[29:30], v[47:48]
	v_fma_f64 v[87:88], v[25:26], v[37:38], v[87:88]
	s_delay_alu instid0(VALU_DEP_4)
	v_fma_f64 v[35:36], v[27:28], v[37:38], -v[35:36]
	v_mul_f64_e32 v[37:38], v[79:80], v[43:44]
	v_mul_f64_e32 v[43:44], v[31:32], v[47:48]
	v_fma_f64 v[31:32], v[31:32], v[45:46], -v[63:64]
	ds_load_b128 v[25:28], v3 offset:576
	v_fma_f64 v[39:40], v[79:80], v[41:42], -v[39:40]
	v_add_f64_e32 v[63:64], v[71:72], v[35:36]
	v_fma_f64 v[37:38], v[77:78], v[41:42], v[37:38]
	s_wait_loadcnt 0x0
	v_mul_f64_e32 v[77:78], v[17:18], v[59:60]
	v_fma_f64 v[29:30], v[29:30], v[45:46], v[43:44]
	v_mul_f64_e32 v[43:44], v[15:16], v[59:60]
	v_mul_f64_e32 v[41:42], v[75:76], v[55:56]
	;; [unrolled: 1-line block ×3, first 2 shown]
	v_add_f64_e64 v[89:90], v[39:40], -v[31:32]
	v_fma_f64 v[59:60], v[63:64], -0.5, v[83:84]
	v_fma_f64 v[63:64], v[15:16], v[57:58], v[77:78]
	v_fma_f64 v[43:44], v[17:18], v[57:58], -v[43:44]
	ds_load_b128 v[15:18], v22
	s_wait_dscnt 0x1
	v_mul_f64_e32 v[47:48], v[25:26], v[51:52]
	v_mul_f64_e32 v[45:46], v[27:28], v[51:52]
	v_fma_f64 v[41:42], v[73:74], v[53:54], v[41:42]
	v_fma_f64 v[51:52], v[75:76], v[53:54], -v[55:56]
	v_add_f64_e32 v[53:54], v[69:70], v[87:88]
	v_add_f64_e64 v[55:56], v[69:70], -v[87:88]
	v_add_f64_e32 v[57:58], v[85:86], v[61:62]
	v_add_f64_e32 v[73:74], v[19:20], v[33:34]
	v_add_f64_e64 v[75:76], v[71:72], -v[35:36]
	v_add_f64_e32 v[69:70], v[81:82], v[69:70]
	v_add_f64_e32 v[71:72], v[83:84], v[71:72]
	global_wb scope:SCOPE_SE
	s_wait_dscnt 0x0
	s_barrier_signal -1
	s_barrier_wait -1
	global_inv scope:SCOPE_SE
	v_fma_f64 v[27:28], v[27:28], v[49:50], -v[47:48]
	v_add_f64_e32 v[47:48], v[39:40], v[31:32]
	v_fma_f64 v[25:26], v[25:26], v[49:50], v[45:46]
	v_add_f64_e32 v[45:46], v[37:38], v[29:30]
	v_add_f64_e64 v[49:50], v[37:38], -v[29:30]
	v_fma_f64 v[53:54], v[53:54], -0.5, v[81:82]
	v_fma_f64 v[77:78], v[55:56], s[2:3], v[59:60]
	v_fma_f64 v[55:56], v[55:56], s[6:7], v[59:60]
	v_add_f64_e32 v[59:60], v[41:42], v[63:64]
	v_add_f64_e32 v[79:80], v[51:52], v[43:44]
	v_add_f64_e64 v[81:82], v[19:20], -v[33:34]
	v_add_f64_e32 v[19:20], v[17:18], v[19:20]
	v_fma_f64 v[17:18], v[73:74], -0.5, v[17:18]
	v_add_f64_e32 v[83:84], v[65:66], v[41:42]
	v_add_f64_e64 v[41:42], v[41:42], -v[63:64]
	v_add_f64_e32 v[35:36], v[71:72], v[35:36]
	v_fma_f64 v[47:48], v[47:48], -0.5, v[27:28]
	v_add_f64_e32 v[27:28], v[27:28], v[39:40]
	v_fma_f64 v[45:46], v[45:46], -0.5, v[25:26]
	v_add_f64_e32 v[25:26], v[25:26], v[37:38]
	v_fma_f64 v[39:40], v[75:76], s[6:7], v[53:54]
	v_fma_f64 v[53:54], v[75:76], s[2:3], v[53:54]
	v_mul_f64_e32 v[75:76], 0.5, v[77:78]
	v_add_f64_e64 v[37:38], v[51:52], -v[43:44]
	v_add_f64_e32 v[51:52], v[67:68], v[51:52]
	v_mul_f64_e32 v[73:74], s[6:7], v[55:56]
	v_mul_f64_e32 v[55:56], -0.5, v[55:56]
	v_fma_f64 v[59:60], v[59:60], -0.5, v[65:66]
	v_fma_f64 v[65:66], v[79:80], -0.5, v[67:68]
	v_add_f64_e32 v[19:20], v[19:20], v[33:34]
	v_add_f64_e32 v[33:34], v[69:70], v[87:88]
	v_fma_f64 v[91:92], v[49:50], s[2:3], v[47:48]
	v_fma_f64 v[47:48], v[49:50], s[6:7], v[47:48]
	v_add_f64_e32 v[49:50], v[15:16], v[85:86]
	v_add_f64_e64 v[85:86], v[85:86], -v[61:62]
	v_fma_f64 v[15:16], v[57:58], -0.5, v[15:16]
	v_mul_f64_e32 v[57:58], s[6:7], v[77:78]
	v_fma_f64 v[67:68], v[89:90], s[6:7], v[45:46]
	v_fma_f64 v[45:46], v[89:90], s[2:3], v[45:46]
	;; [unrolled: 1-line block ×3, first 2 shown]
	v_add_f64_e32 v[43:44], v[51:52], v[43:44]
	v_fma_f64 v[73:74], v[53:54], -0.5, v[73:74]
	v_fma_f64 v[53:54], v[53:54], s[2:3], v[55:56]
	v_add_f64_e32 v[51:52], v[25:26], v[29:30]
	v_fma_f64 v[93:94], v[41:42], s[6:7], v[65:66]
	v_fma_f64 v[87:88], v[37:38], s[2:3], v[59:60]
	v_mul_f64_e32 v[77:78], s[6:7], v[91:92]
	v_mul_f64_e32 v[89:90], 0.5, v[91:92]
	v_mul_f64_e32 v[79:80], s[6:7], v[47:48]
	v_mul_f64_e32 v[47:48], -0.5, v[47:48]
	v_add_f64_e32 v[49:50], v[49:50], v[61:62]
	v_fma_f64 v[69:70], v[81:82], s[6:7], v[15:16]
	v_fma_f64 v[71:72], v[81:82], s[2:3], v[15:16]
	;; [unrolled: 1-line block ×3, first 2 shown]
	v_fma_f64 v[57:58], v[39:40], 0.5, v[57:58]
	v_add_f64_e32 v[61:62], v[83:84], v[63:64]
	v_add_f64_e32 v[63:64], v[27:28], v[31:32]
	v_fma_f64 v[83:84], v[85:86], s[6:7], v[17:18]
	v_fma_f64 v[85:86], v[37:38], s[6:7], v[59:60]
	;; [unrolled: 1-line block ×3, first 2 shown]
	v_add_f64_e32 v[17:18], v[19:20], v[35:36]
	v_add_f64_e64 v[27:28], v[19:20], -v[35:36]
	v_fma_f64 v[65:66], v[67:68], 0.5, v[77:78]
	v_fma_f64 v[67:68], v[67:68], s[2:3], v[89:90]
	v_fma_f64 v[77:78], v[45:46], -0.5, v[79:80]
	v_fma_f64 v[79:80], v[45:46], s[2:3], v[47:48]
	v_add_f64_e32 v[15:16], v[49:50], v[33:34]
	v_add_f64_e64 v[25:26], v[49:50], -v[33:34]
	v_add_f64_e32 v[41:42], v[71:72], v[73:74]
	v_add_f64_e32 v[39:40], v[81:82], v[75:76]
	;; [unrolled: 1-line block ×3, first 2 shown]
	v_add_f64_e64 v[45:46], v[69:70], -v[57:58]
	v_add_f64_e32 v[31:32], v[43:44], v[63:64]
	v_add_f64_e64 v[35:36], v[43:44], -v[63:64]
	v_add_f64_e32 v[43:44], v[83:84], v[53:54]
	;; [unrolled: 2-line block ×3, first 2 shown]
	v_add_f64_e64 v[33:34], v[61:62], -v[51:52]
	v_add_f64_e64 v[49:50], v[71:72], -v[73:74]
	;; [unrolled: 1-line block ×3, first 2 shown]
	v_add_f64_e32 v[53:54], v[85:86], v[65:66]
	v_add_f64_e32 v[55:56], v[91:92], v[67:68]
	;; [unrolled: 1-line block ×4, first 2 shown]
	v_add_f64_e64 v[61:62], v[85:86], -v[65:66]
	v_add_f64_e64 v[63:64], v[91:92], -v[67:68]
	;; [unrolled: 1-line block ×4, first 2 shown]
	ds_store_b128 v6, v[15:18]
	ds_store_b128 v6, v[37:40] offset:96
	ds_store_b128 v6, v[41:44] offset:192
	;; [unrolled: 1-line block ×5, first 2 shown]
	ds_store_b128 v1, v[29:32]
	ds_store_b128 v1, v[53:56] offset:96
	ds_store_b128 v1, v[57:60] offset:192
	ds_store_b128 v1, v[33:36] offset:288
	ds_store_b128 v1, v[61:64] offset:384
	ds_store_b128 v1, v[65:68] offset:480
	global_wb scope:SCOPE_SE
	s_wait_dscnt 0x0
	s_barrier_signal -1
	s_barrier_wait -1
	global_inv scope:SCOPE_SE
	s_clause 0x1
	global_load_b128 v[15:18], v13, s[4:5] offset:480
	global_load_b128 v[25:28], v13, s[4:5] offset:496
	v_mul_i32_i24_e32 v1, 3, v12
	s_delay_alu instid0(VALU_DEP_1) | instskip(SKIP_1) | instid1(VALU_DEP_2)
	v_lshlrev_b64_e32 v[6:7], 4, v[1:2]
	v_mul_i32_i24_e32 v1, 3, v14
	v_add_co_u32 v6, s0, s4, v6
	s_wait_alu 0xf1ff
	s_delay_alu instid0(VALU_DEP_3)
	v_add_co_ci_u32_e64 v7, s0, s5, v7, s0
	s_clause 0x1
	global_load_b128 v[29:32], v13, s[4:5] offset:512
	global_load_b128 v[33:36], v[6:7], off offset:480
	v_lshlrev_b64_e32 v[19:20], 4, v[1:2]
	global_load_b128 v[37:40], v[6:7], off offset:496
	v_add_co_u32 v19, s0, s4, v19
	s_wait_alu 0xf1ff
	v_add_co_ci_u32_e64 v20, s0, s5, v20, s0
	s_clause 0x3
	global_load_b128 v[41:44], v[6:7], off offset:512
	global_load_b128 v[45:48], v[19:20], off offset:480
	global_load_b128 v[49:52], v[19:20], off offset:496
	global_load_b128 v[53:56], v[19:20], off offset:512
	ds_load_b128 v[57:60], v3 offset:576
	ds_load_b128 v[61:64], v3 offset:1152
	s_wait_loadcnt_dscnt 0x801
	v_mul_f64_e32 v[6:7], v[59:60], v[17:18]
	v_mul_f64_e32 v[81:82], v[57:58], v[17:18]
	ds_load_b128 v[17:20], v3 offset:1728
	ds_load_b128 v[65:68], v3 offset:768
	;; [unrolled: 1-line block ×3, first 2 shown]
	s_wait_loadcnt_dscnt 0x703
	v_mul_f64_e32 v[83:84], v[63:64], v[27:28]
	v_mul_f64_e32 v[27:28], v[61:62], v[27:28]
	ds_load_b128 v[73:76], v3 offset:1536
	ds_load_b128 v[77:80], v3 offset:960
	s_wait_loadcnt_dscnt 0x604
	v_mul_f64_e32 v[85:86], v[19:20], v[31:32]
	v_mul_f64_e32 v[31:32], v[17:18], v[31:32]
	s_wait_loadcnt_dscnt 0x503
	v_mul_f64_e32 v[87:88], v[67:68], v[35:36]
	v_fma_f64 v[6:7], v[57:58], v[15:16], v[6:7]
	v_fma_f64 v[81:82], v[59:60], v[15:16], -v[81:82]
	v_mul_f64_e32 v[15:16], v[65:66], v[35:36]
	ds_load_b128 v[57:60], v3 offset:1920
	v_fma_f64 v[35:36], v[61:62], v[25:26], v[83:84]
	v_fma_f64 v[61:62], v[63:64], v[25:26], -v[27:28]
	ds_load_b128 v[25:28], v3 offset:2112
	s_wait_loadcnt_dscnt 0x404
	v_mul_f64_e32 v[63:64], v[71:72], v[39:40]
	v_mul_f64_e32 v[39:40], v[69:70], v[39:40]
	v_fma_f64 v[85:86], v[17:18], v[29:30], v[85:86]
	v_fma_f64 v[19:20], v[19:20], v[29:30], -v[31:32]
	s_wait_loadcnt_dscnt 0x202
	v_mul_f64_e32 v[29:30], v[79:80], v[47:48]
	s_wait_dscnt 0x1
	v_mul_f64_e32 v[83:84], v[59:60], v[43:44]
	v_mul_f64_e32 v[17:18], v[57:58], v[43:44]
	v_mul_f64_e32 v[31:32], v[77:78], v[47:48]
	s_wait_loadcnt 0x1
	v_mul_f64_e32 v[43:44], v[75:76], v[51:52]
	v_fma_f64 v[47:48], v[65:66], v[33:34], v[87:88]
	v_fma_f64 v[33:34], v[67:68], v[33:34], -v[15:16]
	v_mul_f64_e32 v[15:16], v[73:74], v[51:52]
	s_wait_loadcnt_dscnt 0x0
	v_mul_f64_e32 v[51:52], v[27:28], v[55:56]
	v_mul_f64_e32 v[55:56], v[25:26], v[55:56]
	v_fma_f64 v[63:64], v[69:70], v[37:38], v[63:64]
	v_fma_f64 v[37:38], v[71:72], v[37:38], -v[39:40]
	v_add_f64_e64 v[19:20], v[81:82], -v[19:20]
	v_fma_f64 v[39:40], v[57:58], v[41:42], v[83:84]
	v_fma_f64 v[41:42], v[59:60], v[41:42], -v[17:18]
	v_fma_f64 v[57:58], v[77:78], v[45:46], v[29:30]
	v_fma_f64 v[45:46], v[79:80], v[45:46], -v[31:32]
	v_fma_f64 v[43:44], v[73:74], v[49:50], v[43:44]
	v_fma_f64 v[49:50], v[75:76], v[49:50], -v[15:16]
	v_fma_f64 v[51:52], v[25:26], v[53:54], v[51:52]
	v_fma_f64 v[53:54], v[27:28], v[53:54], -v[55:56]
	ds_load_b128 v[15:18], v22
	ds_load_b128 v[25:28], v5
	;; [unrolled: 1-line block ×3, first 2 shown]
	global_wb scope:SCOPE_SE
	s_wait_dscnt 0x0
	s_barrier_signal -1
	s_barrier_wait -1
	global_inv scope:SCOPE_SE
	v_add_f64_e64 v[55:56], v[15:16], -v[35:36]
	v_add_f64_e64 v[59:60], v[17:18], -v[61:62]
	;; [unrolled: 1-line block ×8, first 2 shown]
	v_fma_f64 v[43:44], v[81:82], 2.0, -v[19:20]
	v_add_f64_e64 v[69:70], v[31:32], -v[49:50]
	v_add_f64_e64 v[49:50], v[57:58], -v[51:52]
	;; [unrolled: 1-line block ×3, first 2 shown]
	v_fma_f64 v[51:52], v[15:16], 2.0, -v[55:56]
	v_fma_f64 v[67:68], v[17:18], 2.0, -v[59:60]
	;; [unrolled: 1-line block ×8, first 2 shown]
	v_add_f64_e32 v[15:16], v[55:56], v[19:20]
	v_add_f64_e64 v[17:18], v[59:60], -v[35:36]
	v_add_f64_e32 v[25:26], v[61:62], v[39:40]
                                        ; implicit-def: $vgpr20_vgpr21
	v_fma_f64 v[77:78], v[31:32], 2.0, -v[69:70]
	v_fma_f64 v[53:54], v[57:58], 2.0, -v[49:50]
	;; [unrolled: 1-line block ×3, first 2 shown]
	v_add_f64_e64 v[39:40], v[69:70], -v[49:50]
	v_add_f64_e64 v[31:32], v[67:68], -v[43:44]
	;; [unrolled: 1-line block ×6, first 2 shown]
	v_add_f64_e32 v[37:38], v[65:66], v[41:42]
	v_fma_f64 v[47:48], v[59:60], 2.0, -v[17:18]
	v_fma_f64 v[49:50], v[61:62], 2.0, -v[25:26]
	v_add_f64_e64 v[41:42], v[75:76], -v[53:54]
	v_add_f64_e64 v[43:44], v[77:78], -v[45:46]
	v_fma_f64 v[45:46], v[55:56], 2.0, -v[15:16]
	v_fma_f64 v[55:56], v[67:68], 2.0, -v[31:32]
	;; [unrolled: 1-line block ×10, first 2 shown]
	ds_store_b128 v3, v[29:32] offset:1152
	ds_store_b128 v3, v[15:18] offset:1728
	ds_store_b128 v3, v[53:56]
	ds_store_b128 v3, v[45:48] offset:576
	ds_store_b128 v5, v[57:60]
	ds_store_b128 v5, v[49:52] offset:576
	ds_store_b128 v5, v[33:36] offset:1152
	;; [unrolled: 1-line block ×3, first 2 shown]
	ds_store_b128 v24, v[65:68]
	ds_store_b128 v24, v[61:64] offset:576
	ds_store_b128 v24, v[41:44] offset:1152
	;; [unrolled: 1-line block ×3, first 2 shown]
	global_wb scope:SCOPE_SE
	s_wait_dscnt 0x0
	s_barrier_signal -1
	s_barrier_wait -1
	global_inv scope:SCOPE_SE
	ds_load_b128 v[4:7], v22
	v_sub_nc_u32_e32 v25, v23, v0
                                        ; implicit-def: $vgpr0_vgpr1
                                        ; implicit-def: $vgpr18_vgpr19
                                        ; implicit-def: $vgpr16_vgpr17
	v_cmpx_ne_u32_e32 0, v8
	s_xor_b32 s1, exec_lo, s1
	s_cbranch_execz .LBB0_14
; %bb.13:
	v_mov_b32_e32 v9, v2
	s_delay_alu instid0(VALU_DEP_1) | instskip(NEXT) | instid1(VALU_DEP_1)
	v_lshlrev_b64_e32 v[0:1], 4, v[8:9]
	v_add_co_u32 v0, s0, s4, v0
	s_wait_alu 0xf1ff
	s_delay_alu instid0(VALU_DEP_2)
	v_add_co_ci_u32_e64 v1, s0, s5, v1, s0
	global_load_b128 v[15:18], v[0:1], off offset:2208
	ds_load_b128 v[0:3], v25 offset:2304
	s_wait_dscnt 0x0
	v_add_f64_e64 v[19:20], v[4:5], -v[0:1]
	v_add_f64_e32 v[26:27], v[6:7], v[2:3]
	v_add_f64_e64 v[2:3], v[6:7], -v[2:3]
	v_add_f64_e32 v[0:1], v[4:5], v[0:1]
	s_delay_alu instid0(VALU_DEP_4) | instskip(NEXT) | instid1(VALU_DEP_4)
	v_mul_f64_e32 v[6:7], 0.5, v[19:20]
	v_mul_f64_e32 v[4:5], 0.5, v[26:27]
	s_delay_alu instid0(VALU_DEP_4) | instskip(SKIP_1) | instid1(VALU_DEP_3)
	v_mul_f64_e32 v[2:3], 0.5, v[2:3]
	s_wait_loadcnt 0x0
	v_mul_f64_e32 v[19:20], v[6:7], v[17:18]
	s_delay_alu instid0(VALU_DEP_2) | instskip(SKIP_1) | instid1(VALU_DEP_3)
	v_fma_f64 v[26:27], v[4:5], v[17:18], v[2:3]
	v_fma_f64 v[2:3], v[4:5], v[17:18], -v[2:3]
	v_fma_f64 v[28:29], v[0:1], 0.5, v[19:20]
	v_fma_f64 v[0:1], v[0:1], 0.5, -v[19:20]
	s_delay_alu instid0(VALU_DEP_4) | instskip(NEXT) | instid1(VALU_DEP_4)
	v_fma_f64 v[20:21], -v[15:16], v[6:7], v[26:27]
	v_fma_f64 v[2:3], -v[15:16], v[6:7], v[2:3]
	s_delay_alu instid0(VALU_DEP_4) | instskip(NEXT) | instid1(VALU_DEP_4)
	v_fma_f64 v[18:19], v[4:5], v[15:16], v[28:29]
	v_fma_f64 v[0:1], -v[4:5], v[15:16], v[0:1]
	v_dual_mov_b32 v17, v9 :: v_dual_mov_b32 v16, v8
                                        ; implicit-def: $vgpr4_vgpr5
.LBB0_14:
	s_wait_alu 0xfffe
	s_and_not1_saveexec_b32 s0, s1
	s_cbranch_execz .LBB0_16
; %bb.15:
	s_wait_dscnt 0x0
	v_add_f64_e32 v[18:19], v[4:5], v[6:7]
	v_add_f64_e64 v[0:1], v[4:5], -v[6:7]
	ds_load_b64 v[4:5], v23 offset:1160
	v_mov_b32_e32 v20, 0
	v_dual_mov_b32 v21, 0 :: v_dual_mov_b32 v16, 0
	s_delay_alu instid0(VALU_DEP_2) | instskip(NEXT) | instid1(VALU_DEP_2)
	v_dual_mov_b32 v17, 0 :: v_dual_mov_b32 v2, v20
	v_mov_b32_e32 v3, v21
	s_wait_dscnt 0x0
	v_xor_b32_e32 v5, 0x80000000, v5
	ds_store_b64 v23, v[4:5] offset:1160
.LBB0_16:
	s_wait_alu 0xfffe
	s_or_b32 exec_lo, exec_lo, s0
	v_mov_b32_e32 v13, 0
	v_lshl_add_u32 v9, v12, 4, v23
	s_wait_dscnt 0x0
	s_delay_alu instid0(VALU_DEP_2) | instskip(SKIP_1) | instid1(VALU_DEP_1)
	v_lshlrev_b64_e32 v[4:5], 4, v[12:13]
	v_mov_b32_e32 v15, v13
	v_lshlrev_b64_e32 v[13:14], 4, v[14:15]
	s_delay_alu instid0(VALU_DEP_3) | instskip(SKIP_1) | instid1(VALU_DEP_4)
	v_add_co_u32 v4, s0, s4, v4
	s_wait_alu 0xf1ff
	v_add_co_ci_u32_e64 v5, s0, s5, v5, s0
	s_delay_alu instid0(VALU_DEP_3)
	v_add_co_u32 v13, s0, s4, v13
	global_load_b128 v[4:7], v[4:5], off offset:2208
	s_wait_alu 0xf1ff
	v_add_co_ci_u32_e64 v14, s0, s5, v14, s0
	s_add_nc_u64 s[0:1], s[4:5], 0x8a0
	global_load_b128 v[26:29], v[13:14], off offset:2208
	ds_store_2addr_b64 v22, v[18:19], v[20:21] offset1:1
	ds_store_b128 v25, v[0:3] offset:2304
	ds_load_b128 v[0:3], v9
	ds_load_b128 v[12:15], v25 offset:2112
	s_wait_dscnt 0x0
	v_add_f64_e64 v[18:19], v[0:1], -v[12:13]
	v_add_f64_e32 v[20:21], v[2:3], v[14:15]
	v_add_f64_e64 v[2:3], v[2:3], -v[14:15]
	v_add_f64_e32 v[0:1], v[0:1], v[12:13]
	s_delay_alu instid0(VALU_DEP_4) | instskip(NEXT) | instid1(VALU_DEP_4)
	v_mul_f64_e32 v[14:15], 0.5, v[18:19]
	v_mul_f64_e32 v[18:19], 0.5, v[20:21]
	s_delay_alu instid0(VALU_DEP_4) | instskip(SKIP_1) | instid1(VALU_DEP_3)
	v_mul_f64_e32 v[2:3], 0.5, v[2:3]
	s_wait_loadcnt 0x1
	v_mul_f64_e32 v[12:13], v[14:15], v[6:7]
	s_delay_alu instid0(VALU_DEP_2) | instskip(SKIP_1) | instid1(VALU_DEP_3)
	v_fma_f64 v[20:21], v[18:19], v[6:7], v[2:3]
	v_fma_f64 v[2:3], v[18:19], v[6:7], -v[2:3]
	v_fma_f64 v[30:31], v[0:1], 0.5, v[12:13]
	v_fma_f64 v[0:1], v[0:1], 0.5, -v[12:13]
	s_delay_alu instid0(VALU_DEP_4) | instskip(NEXT) | instid1(VALU_DEP_4)
	v_fma_f64 v[20:21], -v[4:5], v[14:15], v[20:21]
	v_fma_f64 v[6:7], -v[4:5], v[14:15], v[2:3]
	s_delay_alu instid0(VALU_DEP_4) | instskip(NEXT) | instid1(VALU_DEP_4)
	v_fma_f64 v[2:3], v[18:19], v[4:5], v[30:31]
	v_fma_f64 v[4:5], -v[18:19], v[4:5], v[0:1]
	v_lshlrev_b64_e32 v[0:1], 4, v[16:17]
	s_wait_alu 0xfffe
	s_delay_alu instid0(VALU_DEP_1) | instskip(SKIP_1) | instid1(VALU_DEP_2)
	v_add_co_u32 v30, s0, s0, v0
	s_wait_alu 0xf1ff
	v_add_co_ci_u32_e64 v31, s0, s1, v1, s0
	global_load_b128 v[12:15], v[30:31], off offset:576
	ds_store_2addr_b64 v9, v[2:3], v[20:21] offset1:1
	ds_store_b128 v25, v[4:7] offset:2112
	ds_load_b128 v[2:5], v24
	ds_load_b128 v[16:19], v25 offset:1920
	s_wait_dscnt 0x0
	v_add_f64_e64 v[6:7], v[2:3], -v[16:17]
	v_add_f64_e32 v[20:21], v[4:5], v[18:19]
	v_add_f64_e64 v[4:5], v[4:5], -v[18:19]
	v_add_f64_e32 v[2:3], v[2:3], v[16:17]
	s_delay_alu instid0(VALU_DEP_4) | instskip(NEXT) | instid1(VALU_DEP_4)
	v_mul_f64_e32 v[6:7], 0.5, v[6:7]
	v_mul_f64_e32 v[18:19], 0.5, v[20:21]
	s_delay_alu instid0(VALU_DEP_4) | instskip(SKIP_1) | instid1(VALU_DEP_3)
	v_mul_f64_e32 v[4:5], 0.5, v[4:5]
	s_wait_loadcnt 0x1
	v_mul_f64_e32 v[16:17], v[6:7], v[28:29]
	s_delay_alu instid0(VALU_DEP_2) | instskip(SKIP_1) | instid1(VALU_DEP_3)
	v_fma_f64 v[20:21], v[18:19], v[28:29], v[4:5]
	v_fma_f64 v[4:5], v[18:19], v[28:29], -v[4:5]
	v_fma_f64 v[28:29], v[2:3], 0.5, v[16:17]
	v_fma_f64 v[2:3], v[2:3], 0.5, -v[16:17]
	s_delay_alu instid0(VALU_DEP_4) | instskip(NEXT) | instid1(VALU_DEP_4)
	v_fma_f64 v[20:21], -v[26:27], v[6:7], v[20:21]
	v_fma_f64 v[4:5], -v[26:27], v[6:7], v[4:5]
	s_delay_alu instid0(VALU_DEP_4) | instskip(NEXT) | instid1(VALU_DEP_4)
	v_fma_f64 v[6:7], v[18:19], v[26:27], v[28:29]
	v_fma_f64 v[2:3], -v[18:19], v[26:27], v[2:3]
	global_load_b128 v[16:19], v[30:31], off offset:768
	ds_store_2addr_b64 v24, v[6:7], v[20:21] offset1:1
	ds_store_b128 v25, v[2:5] offset:1920
	ds_load_b128 v[2:5], v22 offset:576
	ds_load_b128 v[26:29], v25 offset:1728
	s_wait_dscnt 0x0
	v_add_f64_e64 v[6:7], v[2:3], -v[26:27]
	v_add_f64_e32 v[20:21], v[4:5], v[28:29]
	v_add_f64_e64 v[4:5], v[4:5], -v[28:29]
	v_add_f64_e32 v[2:3], v[2:3], v[26:27]
	s_delay_alu instid0(VALU_DEP_4) | instskip(NEXT) | instid1(VALU_DEP_4)
	v_mul_f64_e32 v[6:7], 0.5, v[6:7]
	v_mul_f64_e32 v[20:21], 0.5, v[20:21]
	s_delay_alu instid0(VALU_DEP_4) | instskip(SKIP_1) | instid1(VALU_DEP_3)
	v_mul_f64_e32 v[4:5], 0.5, v[4:5]
	s_wait_loadcnt 0x1
	v_mul_f64_e32 v[23:24], v[6:7], v[14:15]
	s_delay_alu instid0(VALU_DEP_2) | instskip(SKIP_1) | instid1(VALU_DEP_3)
	v_fma_f64 v[26:27], v[20:21], v[14:15], v[4:5]
	v_fma_f64 v[4:5], v[20:21], v[14:15], -v[4:5]
	v_fma_f64 v[14:15], v[2:3], 0.5, v[23:24]
	v_fma_f64 v[2:3], v[2:3], 0.5, -v[23:24]
	s_delay_alu instid0(VALU_DEP_4) | instskip(NEXT) | instid1(VALU_DEP_4)
	v_fma_f64 v[23:24], -v[12:13], v[6:7], v[26:27]
	v_fma_f64 v[4:5], -v[12:13], v[6:7], v[4:5]
	s_delay_alu instid0(VALU_DEP_4) | instskip(NEXT) | instid1(VALU_DEP_4)
	v_fma_f64 v[6:7], v[20:21], v[12:13], v[14:15]
	v_fma_f64 v[2:3], -v[20:21], v[12:13], v[2:3]
	global_load_b128 v[12:15], v[30:31], off offset:960
	ds_store_2addr_b64 v22, v[6:7], v[23:24] offset0:72 offset1:73
	ds_store_b128 v25, v[2:5] offset:1728
	ds_load_b128 v[2:5], v22 offset:768
	ds_load_b128 v[26:29], v25 offset:1536
	s_wait_dscnt 0x0
	v_add_f64_e64 v[6:7], v[2:3], -v[26:27]
	v_add_f64_e32 v[20:21], v[4:5], v[28:29]
	v_add_f64_e64 v[4:5], v[4:5], -v[28:29]
	v_add_f64_e32 v[2:3], v[2:3], v[26:27]
	s_delay_alu instid0(VALU_DEP_4) | instskip(NEXT) | instid1(VALU_DEP_4)
	v_mul_f64_e32 v[6:7], 0.5, v[6:7]
	v_mul_f64_e32 v[20:21], 0.5, v[20:21]
	s_delay_alu instid0(VALU_DEP_4) | instskip(SKIP_1) | instid1(VALU_DEP_3)
	v_mul_f64_e32 v[4:5], 0.5, v[4:5]
	s_wait_loadcnt 0x1
	v_mul_f64_e32 v[23:24], v[6:7], v[18:19]
	s_delay_alu instid0(VALU_DEP_2) | instskip(SKIP_1) | instid1(VALU_DEP_3)
	v_fma_f64 v[26:27], v[20:21], v[18:19], v[4:5]
	v_fma_f64 v[4:5], v[20:21], v[18:19], -v[4:5]
	v_fma_f64 v[18:19], v[2:3], 0.5, v[23:24]
	v_fma_f64 v[2:3], v[2:3], 0.5, -v[23:24]
	s_delay_alu instid0(VALU_DEP_4) | instskip(NEXT) | instid1(VALU_DEP_4)
	v_fma_f64 v[23:24], -v[16:17], v[6:7], v[26:27]
	v_fma_f64 v[4:5], -v[16:17], v[6:7], v[4:5]
	s_delay_alu instid0(VALU_DEP_4) | instskip(NEXT) | instid1(VALU_DEP_4)
	v_fma_f64 v[6:7], v[20:21], v[16:17], v[18:19]
	v_fma_f64 v[2:3], -v[20:21], v[16:17], v[2:3]
	ds_store_2addr_b64 v22, v[6:7], v[23:24] offset0:96 offset1:97
	ds_store_b128 v25, v[2:5] offset:1536
	ds_load_b128 v[2:5], v22 offset:960
	ds_load_b128 v[16:19], v25 offset:1344
	s_wait_dscnt 0x0
	v_add_f64_e64 v[6:7], v[2:3], -v[16:17]
	v_add_f64_e32 v[20:21], v[4:5], v[18:19]
	v_add_f64_e64 v[4:5], v[4:5], -v[18:19]
	v_add_f64_e32 v[2:3], v[2:3], v[16:17]
	s_delay_alu instid0(VALU_DEP_4) | instskip(NEXT) | instid1(VALU_DEP_4)
	v_mul_f64_e32 v[6:7], 0.5, v[6:7]
	v_mul_f64_e32 v[18:19], 0.5, v[20:21]
	s_delay_alu instid0(VALU_DEP_4) | instskip(SKIP_1) | instid1(VALU_DEP_3)
	v_mul_f64_e32 v[4:5], 0.5, v[4:5]
	s_wait_loadcnt 0x0
	v_mul_f64_e32 v[16:17], v[6:7], v[14:15]
	s_delay_alu instid0(VALU_DEP_2) | instskip(SKIP_1) | instid1(VALU_DEP_3)
	v_fma_f64 v[20:21], v[18:19], v[14:15], v[4:5]
	v_fma_f64 v[4:5], v[18:19], v[14:15], -v[4:5]
	v_fma_f64 v[14:15], v[2:3], 0.5, v[16:17]
	v_fma_f64 v[2:3], v[2:3], 0.5, -v[16:17]
	s_delay_alu instid0(VALU_DEP_4) | instskip(NEXT) | instid1(VALU_DEP_4)
	v_fma_f64 v[16:17], -v[12:13], v[6:7], v[20:21]
	v_fma_f64 v[4:5], -v[12:13], v[6:7], v[4:5]
	s_delay_alu instid0(VALU_DEP_4) | instskip(NEXT) | instid1(VALU_DEP_4)
	v_fma_f64 v[6:7], v[18:19], v[12:13], v[14:15]
	v_fma_f64 v[2:3], -v[18:19], v[12:13], v[2:3]
	ds_store_2addr_b64 v22, v[6:7], v[16:17] offset0:120 offset1:121
	ds_store_b128 v25, v[2:5] offset:1344
	global_wb scope:SCOPE_SE
	s_wait_dscnt 0x0
	s_barrier_signal -1
	s_barrier_wait -1
	global_inv scope:SCOPE_SE
	s_and_saveexec_b32 s0, vcc_lo
	s_cbranch_execz .LBB0_19
; %bb.17:
	v_add_co_u32 v2, vcc_lo, s8, v10
	s_wait_alu 0xfffd
	v_add_co_ci_u32_e32 v3, vcc_lo, s9, v11, vcc_lo
	ds_load_b128 v[4:7], v22
	ds_load_b128 v[9:12], v22 offset:192
	ds_load_b128 v[13:16], v22 offset:384
	;; [unrolled: 1-line block ×11, first 2 shown]
	v_add_co_u32 v0, vcc_lo, v2, v0
	s_wait_alu 0xfffd
	v_add_co_ci_u32_e32 v1, vcc_lo, v3, v1, vcc_lo
	v_cmp_eq_u32_e32 vcc_lo, 11, v8
	s_wait_dscnt 0xb
	global_store_b128 v[0:1], v[4:7], off
	s_wait_dscnt 0xa
	global_store_b128 v[0:1], v[9:12], off offset:192
	s_wait_dscnt 0x9
	global_store_b128 v[0:1], v[13:16], off offset:384
	s_wait_dscnt 0x8
	global_store_b128 v[0:1], v[17:20], off offset:576
	s_wait_dscnt 0x7
	global_store_b128 v[0:1], v[23:26], off offset:768
	s_wait_dscnt 0x6
	global_store_b128 v[0:1], v[27:30], off offset:960
	s_wait_dscnt 0x5
	global_store_b128 v[0:1], v[31:34], off offset:1152
	s_wait_dscnt 0x4
	global_store_b128 v[0:1], v[35:38], off offset:1344
	s_wait_dscnt 0x3
	global_store_b128 v[0:1], v[39:42], off offset:1536
	s_wait_dscnt 0x2
	global_store_b128 v[0:1], v[43:46], off offset:1728
	s_wait_dscnt 0x1
	global_store_b128 v[0:1], v[47:50], off offset:1920
	s_wait_dscnt 0x0
	global_store_b128 v[0:1], v[51:54], off offset:2112
	s_and_b32 exec_lo, exec_lo, vcc_lo
	s_cbranch_execz .LBB0_19
; %bb.18:
	ds_load_b128 v[4:7], v22 offset:2128
	s_wait_dscnt 0x0
	global_store_b128 v[2:3], v[4:7], off offset:2304
.LBB0_19:
	s_nop 0
	s_sendmsg sendmsg(MSG_DEALLOC_VGPRS)
	s_endpgm
	.section	.rodata,"a",@progbits
	.p2align	6, 0x0
	.amdhsa_kernel fft_rtc_back_len144_factors_6_6_4_wgs_120_tpt_12_halfLds_dp_ip_CI_unitstride_sbrr_R2C_dirReg
		.amdhsa_group_segment_fixed_size 0
		.amdhsa_private_segment_fixed_size 0
		.amdhsa_kernarg_size 88
		.amdhsa_user_sgpr_count 2
		.amdhsa_user_sgpr_dispatch_ptr 0
		.amdhsa_user_sgpr_queue_ptr 0
		.amdhsa_user_sgpr_kernarg_segment_ptr 1
		.amdhsa_user_sgpr_dispatch_id 0
		.amdhsa_user_sgpr_private_segment_size 0
		.amdhsa_wavefront_size32 1
		.amdhsa_uses_dynamic_stack 0
		.amdhsa_enable_private_segment 0
		.amdhsa_system_sgpr_workgroup_id_x 1
		.amdhsa_system_sgpr_workgroup_id_y 0
		.amdhsa_system_sgpr_workgroup_id_z 0
		.amdhsa_system_sgpr_workgroup_info 0
		.amdhsa_system_vgpr_workitem_id 0
		.amdhsa_next_free_vgpr 95
		.amdhsa_next_free_sgpr 32
		.amdhsa_reserve_vcc 1
		.amdhsa_float_round_mode_32 0
		.amdhsa_float_round_mode_16_64 0
		.amdhsa_float_denorm_mode_32 3
		.amdhsa_float_denorm_mode_16_64 3
		.amdhsa_fp16_overflow 0
		.amdhsa_workgroup_processor_mode 1
		.amdhsa_memory_ordered 1
		.amdhsa_forward_progress 0
		.amdhsa_round_robin_scheduling 0
		.amdhsa_exception_fp_ieee_invalid_op 0
		.amdhsa_exception_fp_denorm_src 0
		.amdhsa_exception_fp_ieee_div_zero 0
		.amdhsa_exception_fp_ieee_overflow 0
		.amdhsa_exception_fp_ieee_underflow 0
		.amdhsa_exception_fp_ieee_inexact 0
		.amdhsa_exception_int_div_zero 0
	.end_amdhsa_kernel
	.text
.Lfunc_end0:
	.size	fft_rtc_back_len144_factors_6_6_4_wgs_120_tpt_12_halfLds_dp_ip_CI_unitstride_sbrr_R2C_dirReg, .Lfunc_end0-fft_rtc_back_len144_factors_6_6_4_wgs_120_tpt_12_halfLds_dp_ip_CI_unitstride_sbrr_R2C_dirReg
                                        ; -- End function
	.section	.AMDGPU.csdata,"",@progbits
; Kernel info:
; codeLenInByte = 7056
; NumSgprs: 34
; NumVgprs: 95
; ScratchSize: 0
; MemoryBound: 0
; FloatMode: 240
; IeeeMode: 1
; LDSByteSize: 0 bytes/workgroup (compile time only)
; SGPRBlocks: 4
; VGPRBlocks: 11
; NumSGPRsForWavesPerEU: 34
; NumVGPRsForWavesPerEU: 95
; Occupancy: 16
; WaveLimiterHint : 1
; COMPUTE_PGM_RSRC2:SCRATCH_EN: 0
; COMPUTE_PGM_RSRC2:USER_SGPR: 2
; COMPUTE_PGM_RSRC2:TRAP_HANDLER: 0
; COMPUTE_PGM_RSRC2:TGID_X_EN: 1
; COMPUTE_PGM_RSRC2:TGID_Y_EN: 0
; COMPUTE_PGM_RSRC2:TGID_Z_EN: 0
; COMPUTE_PGM_RSRC2:TIDIG_COMP_CNT: 0
	.text
	.p2alignl 7, 3214868480
	.fill 96, 4, 3214868480
	.type	__hip_cuid_e2ec9d708ab34bb3,@object ; @__hip_cuid_e2ec9d708ab34bb3
	.section	.bss,"aw",@nobits
	.globl	__hip_cuid_e2ec9d708ab34bb3
__hip_cuid_e2ec9d708ab34bb3:
	.byte	0                               ; 0x0
	.size	__hip_cuid_e2ec9d708ab34bb3, 1

	.ident	"AMD clang version 19.0.0git (https://github.com/RadeonOpenCompute/llvm-project roc-6.4.0 25133 c7fe45cf4b819c5991fe208aaa96edf142730f1d)"
	.section	".note.GNU-stack","",@progbits
	.addrsig
	.addrsig_sym __hip_cuid_e2ec9d708ab34bb3
	.amdgpu_metadata
---
amdhsa.kernels:
  - .args:
      - .actual_access:  read_only
        .address_space:  global
        .offset:         0
        .size:           8
        .value_kind:     global_buffer
      - .offset:         8
        .size:           8
        .value_kind:     by_value
      - .actual_access:  read_only
        .address_space:  global
        .offset:         16
        .size:           8
        .value_kind:     global_buffer
      - .actual_access:  read_only
        .address_space:  global
        .offset:         24
        .size:           8
        .value_kind:     global_buffer
      - .offset:         32
        .size:           8
        .value_kind:     by_value
      - .actual_access:  read_only
        .address_space:  global
        .offset:         40
        .size:           8
        .value_kind:     global_buffer
      - .actual_access:  read_only
        .address_space:  global
        .offset:         48
        .size:           8
        .value_kind:     global_buffer
      - .offset:         56
        .size:           4
        .value_kind:     by_value
      - .actual_access:  read_only
        .address_space:  global
        .offset:         64
        .size:           8
        .value_kind:     global_buffer
      - .actual_access:  read_only
        .address_space:  global
        .offset:         72
        .size:           8
        .value_kind:     global_buffer
      - .address_space:  global
        .offset:         80
        .size:           8
        .value_kind:     global_buffer
    .group_segment_fixed_size: 0
    .kernarg_segment_align: 8
    .kernarg_segment_size: 88
    .language:       OpenCL C
    .language_version:
      - 2
      - 0
    .max_flat_workgroup_size: 120
    .name:           fft_rtc_back_len144_factors_6_6_4_wgs_120_tpt_12_halfLds_dp_ip_CI_unitstride_sbrr_R2C_dirReg
    .private_segment_fixed_size: 0
    .sgpr_count:     34
    .sgpr_spill_count: 0
    .symbol:         fft_rtc_back_len144_factors_6_6_4_wgs_120_tpt_12_halfLds_dp_ip_CI_unitstride_sbrr_R2C_dirReg.kd
    .uniform_work_group_size: 1
    .uses_dynamic_stack: false
    .vgpr_count:     95
    .vgpr_spill_count: 0
    .wavefront_size: 32
    .workgroup_processor_mode: 1
amdhsa.target:   amdgcn-amd-amdhsa--gfx1201
amdhsa.version:
  - 1
  - 2
...

	.end_amdgpu_metadata
